;; amdgpu-corpus repo=ROCm/rocFFT kind=compiled arch=gfx906 opt=O3
	.text
	.amdgcn_target "amdgcn-amd-amdhsa--gfx906"
	.amdhsa_code_object_version 6
	.protected	fft_rtc_back_len1152_factors_4_3_8_3_4_wgs_144_tpt_144_halfLds_dp_ip_CI_unitstride_sbrr_C2R_dirReg ; -- Begin function fft_rtc_back_len1152_factors_4_3_8_3_4_wgs_144_tpt_144_halfLds_dp_ip_CI_unitstride_sbrr_C2R_dirReg
	.globl	fft_rtc_back_len1152_factors_4_3_8_3_4_wgs_144_tpt_144_halfLds_dp_ip_CI_unitstride_sbrr_C2R_dirReg
	.p2align	8
	.type	fft_rtc_back_len1152_factors_4_3_8_3_4_wgs_144_tpt_144_halfLds_dp_ip_CI_unitstride_sbrr_C2R_dirReg,@function
fft_rtc_back_len1152_factors_4_3_8_3_4_wgs_144_tpt_144_halfLds_dp_ip_CI_unitstride_sbrr_C2R_dirReg: ; @fft_rtc_back_len1152_factors_4_3_8_3_4_wgs_144_tpt_144_halfLds_dp_ip_CI_unitstride_sbrr_C2R_dirReg
; %bb.0:
	s_load_dwordx2 s[12:13], s[4:5], 0x50
	s_load_dwordx4 s[8:11], s[4:5], 0x0
	s_load_dwordx2 s[2:3], s[4:5], 0x18
	v_mul_u32_u24_e32 v1, 0x1c8, v0
	v_add_u32_sdwa v5, s6, v1 dst_sel:DWORD dst_unused:UNUSED_PAD src0_sel:DWORD src1_sel:WORD_1
	v_mov_b32_e32 v3, 0
	s_waitcnt lgkmcnt(0)
	v_cmp_lt_u64_e64 s[0:1], s[10:11], 2
	v_mov_b32_e32 v1, 0
	v_mov_b32_e32 v6, v3
	s_and_b64 vcc, exec, s[0:1]
	v_mov_b32_e32 v2, 0
	s_cbranch_vccnz .LBB0_8
; %bb.1:
	s_load_dwordx2 s[0:1], s[4:5], 0x10
	s_add_u32 s6, s2, 8
	s_addc_u32 s7, s3, 0
	v_mov_b32_e32 v1, 0
	v_mov_b32_e32 v2, 0
	s_waitcnt lgkmcnt(0)
	s_add_u32 s14, s0, 8
	s_addc_u32 s15, s1, 0
	s_mov_b64 s[16:17], 1
.LBB0_2:                                ; =>This Inner Loop Header: Depth=1
	s_load_dwordx2 s[18:19], s[14:15], 0x0
                                        ; implicit-def: $vgpr7_vgpr8
	s_waitcnt lgkmcnt(0)
	v_or_b32_e32 v4, s19, v6
	v_cmp_ne_u64_e32 vcc, 0, v[3:4]
	s_and_saveexec_b64 s[0:1], vcc
	s_xor_b64 s[20:21], exec, s[0:1]
	s_cbranch_execz .LBB0_4
; %bb.3:                                ;   in Loop: Header=BB0_2 Depth=1
	v_cvt_f32_u32_e32 v4, s18
	v_cvt_f32_u32_e32 v7, s19
	s_sub_u32 s0, 0, s18
	s_subb_u32 s1, 0, s19
	v_mac_f32_e32 v4, 0x4f800000, v7
	v_rcp_f32_e32 v4, v4
	v_mul_f32_e32 v4, 0x5f7ffffc, v4
	v_mul_f32_e32 v7, 0x2f800000, v4
	v_trunc_f32_e32 v7, v7
	v_mac_f32_e32 v4, 0xcf800000, v7
	v_cvt_u32_f32_e32 v7, v7
	v_cvt_u32_f32_e32 v4, v4
	v_mul_lo_u32 v8, s0, v7
	v_mul_hi_u32 v9, s0, v4
	v_mul_lo_u32 v11, s1, v4
	v_mul_lo_u32 v10, s0, v4
	v_add_u32_e32 v8, v9, v8
	v_add_u32_e32 v8, v8, v11
	v_mul_hi_u32 v9, v4, v10
	v_mul_lo_u32 v11, v4, v8
	v_mul_hi_u32 v13, v4, v8
	v_mul_hi_u32 v12, v7, v10
	v_mul_lo_u32 v10, v7, v10
	v_mul_hi_u32 v14, v7, v8
	v_add_co_u32_e32 v9, vcc, v9, v11
	v_addc_co_u32_e32 v11, vcc, 0, v13, vcc
	v_mul_lo_u32 v8, v7, v8
	v_add_co_u32_e32 v9, vcc, v9, v10
	v_addc_co_u32_e32 v9, vcc, v11, v12, vcc
	v_addc_co_u32_e32 v10, vcc, 0, v14, vcc
	v_add_co_u32_e32 v8, vcc, v9, v8
	v_addc_co_u32_e32 v9, vcc, 0, v10, vcc
	v_add_co_u32_e32 v4, vcc, v4, v8
	v_addc_co_u32_e32 v7, vcc, v7, v9, vcc
	v_mul_lo_u32 v8, s0, v7
	v_mul_hi_u32 v9, s0, v4
	v_mul_lo_u32 v10, s1, v4
	v_mul_lo_u32 v11, s0, v4
	v_add_u32_e32 v8, v9, v8
	v_add_u32_e32 v8, v8, v10
	v_mul_lo_u32 v12, v4, v8
	v_mul_hi_u32 v13, v4, v11
	v_mul_hi_u32 v14, v4, v8
	;; [unrolled: 1-line block ×3, first 2 shown]
	v_mul_lo_u32 v11, v7, v11
	v_mul_hi_u32 v9, v7, v8
	v_add_co_u32_e32 v12, vcc, v13, v12
	v_addc_co_u32_e32 v13, vcc, 0, v14, vcc
	v_mul_lo_u32 v8, v7, v8
	v_add_co_u32_e32 v11, vcc, v12, v11
	v_addc_co_u32_e32 v10, vcc, v13, v10, vcc
	v_addc_co_u32_e32 v9, vcc, 0, v9, vcc
	v_add_co_u32_e32 v8, vcc, v10, v8
	v_addc_co_u32_e32 v9, vcc, 0, v9, vcc
	v_add_co_u32_e32 v4, vcc, v4, v8
	v_addc_co_u32_e32 v9, vcc, v7, v9, vcc
	v_mad_u64_u32 v[7:8], s[0:1], v5, v9, 0
	v_mul_hi_u32 v10, v5, v4
	v_add_co_u32_e32 v11, vcc, v10, v7
	v_addc_co_u32_e32 v12, vcc, 0, v8, vcc
	v_mad_u64_u32 v[7:8], s[0:1], v6, v4, 0
	v_mad_u64_u32 v[9:10], s[0:1], v6, v9, 0
	v_add_co_u32_e32 v4, vcc, v11, v7
	v_addc_co_u32_e32 v4, vcc, v12, v8, vcc
	v_addc_co_u32_e32 v7, vcc, 0, v10, vcc
	v_add_co_u32_e32 v4, vcc, v4, v9
	v_addc_co_u32_e32 v9, vcc, 0, v7, vcc
	v_mul_lo_u32 v10, s19, v4
	v_mul_lo_u32 v11, s18, v9
	v_mad_u64_u32 v[7:8], s[0:1], s18, v4, 0
	v_add3_u32 v8, v8, v11, v10
	v_sub_u32_e32 v10, v6, v8
	v_mov_b32_e32 v11, s19
	v_sub_co_u32_e32 v7, vcc, v5, v7
	v_subb_co_u32_e64 v10, s[0:1], v10, v11, vcc
	v_subrev_co_u32_e64 v11, s[0:1], s18, v7
	v_subbrev_co_u32_e64 v10, s[0:1], 0, v10, s[0:1]
	v_cmp_le_u32_e64 s[0:1], s19, v10
	v_cndmask_b32_e64 v12, 0, -1, s[0:1]
	v_cmp_le_u32_e64 s[0:1], s18, v11
	v_cndmask_b32_e64 v11, 0, -1, s[0:1]
	v_cmp_eq_u32_e64 s[0:1], s19, v10
	v_cndmask_b32_e64 v10, v12, v11, s[0:1]
	v_add_co_u32_e64 v11, s[0:1], 2, v4
	v_addc_co_u32_e64 v12, s[0:1], 0, v9, s[0:1]
	v_add_co_u32_e64 v13, s[0:1], 1, v4
	v_addc_co_u32_e64 v14, s[0:1], 0, v9, s[0:1]
	v_subb_co_u32_e32 v8, vcc, v6, v8, vcc
	v_cmp_ne_u32_e64 s[0:1], 0, v10
	v_cmp_le_u32_e32 vcc, s19, v8
	v_cndmask_b32_e64 v10, v14, v12, s[0:1]
	v_cndmask_b32_e64 v12, 0, -1, vcc
	v_cmp_le_u32_e32 vcc, s18, v7
	v_cndmask_b32_e64 v7, 0, -1, vcc
	v_cmp_eq_u32_e32 vcc, s19, v8
	v_cndmask_b32_e32 v7, v12, v7, vcc
	v_cmp_ne_u32_e32 vcc, 0, v7
	v_cndmask_b32_e64 v7, v13, v11, s[0:1]
	v_cndmask_b32_e32 v8, v9, v10, vcc
	v_cndmask_b32_e32 v7, v4, v7, vcc
.LBB0_4:                                ;   in Loop: Header=BB0_2 Depth=1
	s_andn2_saveexec_b64 s[0:1], s[20:21]
	s_cbranch_execz .LBB0_6
; %bb.5:                                ;   in Loop: Header=BB0_2 Depth=1
	v_cvt_f32_u32_e32 v4, s18
	s_sub_i32 s20, 0, s18
	v_rcp_iflag_f32_e32 v4, v4
	v_mul_f32_e32 v4, 0x4f7ffffe, v4
	v_cvt_u32_f32_e32 v4, v4
	v_mul_lo_u32 v7, s20, v4
	v_mul_hi_u32 v7, v4, v7
	v_add_u32_e32 v4, v4, v7
	v_mul_hi_u32 v4, v5, v4
	v_mul_lo_u32 v7, v4, s18
	v_add_u32_e32 v8, 1, v4
	v_sub_u32_e32 v7, v5, v7
	v_subrev_u32_e32 v9, s18, v7
	v_cmp_le_u32_e32 vcc, s18, v7
	v_cndmask_b32_e32 v7, v7, v9, vcc
	v_cndmask_b32_e32 v4, v4, v8, vcc
	v_add_u32_e32 v8, 1, v4
	v_cmp_le_u32_e32 vcc, s18, v7
	v_cndmask_b32_e32 v7, v4, v8, vcc
	v_mov_b32_e32 v8, v3
.LBB0_6:                                ;   in Loop: Header=BB0_2 Depth=1
	s_or_b64 exec, exec, s[0:1]
	v_mul_lo_u32 v4, v8, s18
	v_mul_lo_u32 v11, v7, s19
	v_mad_u64_u32 v[9:10], s[0:1], v7, s18, 0
	s_load_dwordx2 s[0:1], s[6:7], 0x0
	s_add_u32 s16, s16, 1
	v_add3_u32 v4, v10, v11, v4
	v_sub_co_u32_e32 v5, vcc, v5, v9
	v_subb_co_u32_e32 v4, vcc, v6, v4, vcc
	s_waitcnt lgkmcnt(0)
	v_mul_lo_u32 v4, s0, v4
	v_mul_lo_u32 v6, s1, v5
	v_mad_u64_u32 v[1:2], s[0:1], s0, v5, v[1:2]
	s_addc_u32 s17, s17, 0
	s_add_u32 s6, s6, 8
	v_add3_u32 v2, v6, v2, v4
	v_mov_b32_e32 v4, s10
	v_mov_b32_e32 v5, s11
	s_addc_u32 s7, s7, 0
	v_cmp_ge_u64_e32 vcc, s[16:17], v[4:5]
	s_add_u32 s14, s14, 8
	s_addc_u32 s15, s15, 0
	s_cbranch_vccnz .LBB0_9
; %bb.7:                                ;   in Loop: Header=BB0_2 Depth=1
	v_mov_b32_e32 v5, v7
	v_mov_b32_e32 v6, v8
	s_branch .LBB0_2
.LBB0_8:
	v_mov_b32_e32 v8, v6
	v_mov_b32_e32 v7, v5
.LBB0_9:
	s_lshl_b64 s[0:1], s[10:11], 3
	s_add_u32 s0, s2, s0
	s_addc_u32 s1, s3, s1
	s_load_dwordx2 s[2:3], s[0:1], 0x0
	s_load_dwordx2 s[6:7], s[4:5], 0x20
	s_waitcnt lgkmcnt(0)
	v_mad_u64_u32 v[1:2], s[0:1], s2, v7, v[1:2]
	v_mul_lo_u32 v3, s2, v8
	v_mul_lo_u32 v4, s3, v7
	s_mov_b32 s0, 0x1c71c72
	v_mul_hi_u32 v5, v0, s0
	v_cmp_gt_u64_e64 s[0:1], s[6:7], v[7:8]
	v_add3_u32 v2, v4, v2, v3
	v_lshlrev_b64 v[38:39], 4, v[1:2]
	v_mul_u32_u24_e32 v3, 0x90, v5
	v_sub_u32_e32 v36, v0, v3
	s_and_saveexec_b64 s[2:3], s[0:1]
	s_cbranch_execz .LBB0_13
; %bb.10:
	v_mov_b32_e32 v37, 0
	v_mov_b32_e32 v0, s13
	v_add_co_u32_e32 v1, vcc, s12, v38
	v_lshlrev_b64 v[2:3], 4, v[36:37]
	v_addc_co_u32_e32 v0, vcc, v0, v39, vcc
	v_add_co_u32_e32 v25, vcc, v1, v2
	v_addc_co_u32_e32 v26, vcc, v0, v3, vcc
	v_add_co_u32_e32 v18, vcc, 0x1000, v25
	;; [unrolled: 2-line block ×4, first 2 shown]
	v_addc_co_u32_e32 v35, vcc, 0, v26, vcc
	global_load_dwordx4 v[2:5], v[25:26], off
	global_load_dwordx4 v[6:9], v[25:26], off offset:2304
	global_load_dwordx4 v[10:13], v[18:19], off offset:512
	;; [unrolled: 1-line block ×3, first 2 shown]
	s_nop 0
	global_load_dwordx4 v[18:21], v[27:28], off offset:1024
	global_load_dwordx4 v[22:25], v[27:28], off offset:3328
	s_nop 0
	global_load_dwordx4 v[26:29], v[34:35], off offset:1536
	global_load_dwordx4 v[30:33], v[34:35], off offset:3840
	s_movk_i32 s4, 0x8f
	v_lshl_add_u32 v34, v36, 4, 0
	v_cmp_eq_u32_e32 vcc, s4, v36
	s_waitcnt vmcnt(7)
	ds_write_b128 v34, v[2:5]
	s_waitcnt vmcnt(6)
	ds_write_b128 v34, v[6:9] offset:2304
	s_waitcnt vmcnt(5)
	ds_write_b128 v34, v[10:13] offset:4608
	;; [unrolled: 2-line block ×7, first 2 shown]
	s_and_saveexec_b64 s[4:5], vcc
	s_cbranch_execz .LBB0_12
; %bb.11:
	v_add_co_u32_e32 v1, vcc, 0x4000, v1
	v_addc_co_u32_e32 v2, vcc, 0, v0, vcc
	global_load_dwordx4 v[0:3], v[1:2], off offset:2048
	v_mov_b32_e32 v36, 0x8f
	s_waitcnt vmcnt(0)
	ds_write_b128 v37, v[0:3] offset:18432
.LBB0_12:
	s_or_b64 exec, exec, s[4:5]
.LBB0_13:
	s_or_b64 exec, exec, s[2:3]
	v_lshlrev_b32_e32 v0, 4, v36
	v_add_u32_e32 v40, 0, v0
	s_waitcnt lgkmcnt(0)
	s_barrier
	v_sub_u32_e32 v6, 0, v0
	ds_read_b64 v[2:3], v40
	ds_read_b64 v[4:5], v6 offset:18432
	s_add_u32 s4, s8, 0x47c0
	s_addc_u32 s5, s9, 0
	v_cmp_ne_u32_e32 vcc, 0, v36
	s_waitcnt lgkmcnt(0)
	v_add_f64 v[0:1], v[2:3], v[4:5]
	v_add_f64 v[2:3], v[2:3], -v[4:5]
                                        ; implicit-def: $vgpr4_vgpr5
	s_and_saveexec_b64 s[2:3], vcc
	s_xor_b64 s[2:3], exec, s[2:3]
	s_cbranch_execz .LBB0_15
; %bb.14:
	v_mov_b32_e32 v37, 0
	v_lshlrev_b64 v[4:5], 4, v[36:37]
	v_mov_b32_e32 v7, s5
	v_add_co_u32_e32 v4, vcc, s4, v4
	v_addc_co_u32_e32 v5, vcc, v7, v5, vcc
	global_load_dwordx4 v[7:10], v[4:5], off
	ds_read_b64 v[4:5], v6 offset:18440
	ds_read_b64 v[11:12], v40 offset:8
	s_waitcnt lgkmcnt(0)
	v_add_f64 v[13:14], v[4:5], v[11:12]
	v_add_f64 v[4:5], v[11:12], -v[4:5]
	s_waitcnt vmcnt(0)
	v_fma_f64 v[11:12], v[2:3], v[9:10], v[0:1]
	v_fma_f64 v[15:16], v[13:14], v[9:10], v[4:5]
	v_fma_f64 v[4:5], v[13:14], v[9:10], -v[4:5]
	v_fma_f64 v[0:1], -v[2:3], v[9:10], v[0:1]
	v_fma_f64 v[9:10], -v[13:14], v[7:8], v[11:12]
	v_fma_f64 v[11:12], v[2:3], v[7:8], v[15:16]
	v_fma_f64 v[2:3], v[2:3], v[7:8], v[4:5]
	;; [unrolled: 1-line block ×3, first 2 shown]
	v_mov_b32_e32 v4, v36
	v_mov_b32_e32 v5, v37
	ds_write_b128 v40, v[9:12]
	ds_write_b128 v6, v[0:3] offset:18432
                                        ; implicit-def: $vgpr0_vgpr1
.LBB0_15:
	s_andn2_saveexec_b64 s[2:3], s[2:3]
	s_cbranch_execz .LBB0_17
; %bb.16:
	ds_write_b128 v40, v[0:3]
	v_mov_b32_e32 v7, 0
	ds_read_b128 v[0:3], v7 offset:9216
	v_mov_b32_e32 v4, 0
	v_mov_b32_e32 v5, 0
	s_waitcnt lgkmcnt(0)
	v_add_f64 v[0:1], v[0:1], v[0:1]
	v_mul_f64 v[2:3], v[2:3], -2.0
	ds_write_b128 v7, v[0:3] offset:9216
.LBB0_17:
	s_or_b64 exec, exec, s[2:3]
	v_lshlrev_b64 v[0:1], 4, v[4:5]
	v_mov_b32_e32 v2, s5
	v_add_co_u32_e32 v4, vcc, s4, v0
	v_addc_co_u32_e32 v5, vcc, v2, v1, vcc
	global_load_dwordx4 v[0:3], v[4:5], off offset:2304
	s_movk_i32 s2, 0x1000
	v_add_co_u32_e32 v4, vcc, s2, v4
	v_addc_co_u32_e32 v5, vcc, 0, v5, vcc
	global_load_dwordx4 v[7:10], v[4:5], off offset:512
	ds_read_b128 v[11:14], v40 offset:2304
	ds_read_b128 v[15:18], v6 offset:16128
	global_load_dwordx4 v[19:22], v[4:5], off offset:2816
	v_mad_u32_u24 v47, v36, 48, v40
	v_add_u32_e32 v37, 0x90, v36
	v_lshl_add_u32 v48, v37, 6, 0
	s_waitcnt lgkmcnt(0)
	v_add_f64 v[4:5], v[11:12], v[15:16]
	v_add_f64 v[23:24], v[17:18], v[13:14]
	v_add_f64 v[15:16], v[11:12], -v[15:16]
	v_add_f64 v[11:12], v[13:14], -v[17:18]
	s_movk_i32 s2, 0x60
	v_cmp_gt_u32_e32 vcc, s2, v36
	s_waitcnt vmcnt(2)
	v_fma_f64 v[13:14], v[15:16], v[2:3], v[4:5]
	v_fma_f64 v[17:18], v[23:24], v[2:3], v[11:12]
	v_fma_f64 v[25:26], -v[15:16], v[2:3], v[4:5]
	v_fma_f64 v[27:28], v[23:24], v[2:3], -v[11:12]
	v_fma_f64 v[2:3], -v[23:24], v[0:1], v[13:14]
	v_fma_f64 v[4:5], v[15:16], v[0:1], v[17:18]
	v_fma_f64 v[11:12], v[23:24], v[0:1], v[25:26]
	;; [unrolled: 1-line block ×3, first 2 shown]
	ds_write_b128 v40, v[2:5] offset:2304
	ds_write_b128 v6, v[11:14] offset:16128
	ds_read_b128 v[0:3], v40 offset:4608
	ds_read_b128 v[11:14], v6 offset:13824
	s_waitcnt lgkmcnt(0)
	v_add_f64 v[4:5], v[0:1], v[11:12]
	v_add_f64 v[15:16], v[13:14], v[2:3]
	v_add_f64 v[11:12], v[0:1], -v[11:12]
	v_add_f64 v[0:1], v[2:3], -v[13:14]
	s_waitcnt vmcnt(1)
	v_fma_f64 v[2:3], v[11:12], v[9:10], v[4:5]
	v_fma_f64 v[13:14], v[15:16], v[9:10], v[0:1]
	v_fma_f64 v[4:5], -v[11:12], v[9:10], v[4:5]
	v_fma_f64 v[17:18], v[15:16], v[9:10], -v[0:1]
	v_fma_f64 v[0:1], -v[15:16], v[7:8], v[2:3]
	v_fma_f64 v[2:3], v[11:12], v[7:8], v[13:14]
	v_fma_f64 v[9:10], v[15:16], v[7:8], v[4:5]
	;; [unrolled: 1-line block ×3, first 2 shown]
	ds_write_b128 v40, v[0:3] offset:4608
	ds_write_b128 v6, v[9:12] offset:13824
	ds_read_b128 v[0:3], v40 offset:6912
	ds_read_b128 v[7:10], v6 offset:11520
	s_waitcnt lgkmcnt(0)
	v_add_f64 v[4:5], v[0:1], v[7:8]
	v_add_f64 v[11:12], v[9:10], v[2:3]
	v_add_f64 v[13:14], v[0:1], -v[7:8]
	v_add_f64 v[0:1], v[2:3], -v[9:10]
	s_waitcnt vmcnt(0)
	v_fma_f64 v[2:3], v[13:14], v[21:22], v[4:5]
	v_fma_f64 v[7:8], v[11:12], v[21:22], v[0:1]
	v_fma_f64 v[4:5], -v[13:14], v[21:22], v[4:5]
	v_fma_f64 v[9:10], v[11:12], v[21:22], -v[0:1]
	v_fma_f64 v[0:1], -v[11:12], v[19:20], v[2:3]
	v_fma_f64 v[2:3], v[13:14], v[19:20], v[7:8]
	v_fma_f64 v[7:8], v[11:12], v[19:20], v[4:5]
	;; [unrolled: 1-line block ×3, first 2 shown]
	ds_write_b128 v40, v[0:3] offset:6912
	ds_write_b128 v6, v[7:10] offset:11520
	s_waitcnt lgkmcnt(0)
	s_barrier
	s_barrier
	ds_read_b128 v[0:3], v40 offset:4608
	ds_read_b128 v[4:7], v40 offset:6912
	;; [unrolled: 1-line block ×5, first 2 shown]
	ds_read_b128 v[20:23], v40
	ds_read_b128 v[24:27], v40 offset:2304
	ds_read_b128 v[28:31], v40 offset:11520
	s_waitcnt lgkmcnt(5)
	v_add_f64 v[32:33], v[0:1], -v[8:9]
	v_add_f64 v[8:9], v[2:3], -v[10:11]
	s_waitcnt lgkmcnt(2)
	v_add_f64 v[16:17], v[20:21], -v[16:17]
	v_add_f64 v[18:19], v[22:23], -v[18:19]
	;; [unrolled: 3-line block ×3, first 2 shown]
	v_add_f64 v[30:31], v[4:5], -v[12:13]
	v_add_f64 v[12:13], v[6:7], -v[14:15]
	v_fma_f64 v[14:15], v[0:1], 2.0, -v[32:33]
	v_fma_f64 v[2:3], v[2:3], 2.0, -v[8:9]
	;; [unrolled: 1-line block ×8, first 2 shown]
	v_add_f64 v[8:9], v[16:17], v[8:9]
	v_add_f64 v[10:11], v[18:19], -v[32:33]
	v_add_f64 v[0:1], v[28:29], v[12:13]
	v_add_f64 v[12:13], v[41:42], -v[14:15]
	v_add_f64 v[14:15], v[22:23], -v[2:3]
	;; [unrolled: 1-line block ×5, first 2 shown]
	v_fma_f64 v[16:17], v[16:17], 2.0, -v[8:9]
	v_fma_f64 v[18:19], v[18:19], 2.0, -v[10:11]
	;; [unrolled: 1-line block ×8, first 2 shown]
	s_barrier
	ds_write_b128 v47, v[8:11] offset:48
	ds_write_b128 v47, v[16:19] offset:16
	;; [unrolled: 1-line block ×3, first 2 shown]
	ds_write_b128 v47, v[24:27]
	ds_write_b128 v48, v[28:31]
	ds_write_b128 v48, v[20:23] offset:16
	ds_write_b128 v48, v[4:7] offset:32
	ds_write_b128 v48, v[0:3] offset:48
	s_waitcnt lgkmcnt(0)
	s_barrier
	ds_read_b128 v[12:15], v40
	ds_read_b128 v[8:11], v40 offset:2304
	ds_read_b128 v[28:31], v40 offset:6144
	;; [unrolled: 1-line block ×5, first 2 shown]
                                        ; implicit-def: $vgpr34_vgpr35
	s_and_saveexec_b64 s[2:3], vcc
	s_cbranch_execz .LBB0_19
; %bb.18:
	ds_read_b128 v[4:7], v40 offset:4608
	ds_read_b128 v[0:3], v40 offset:10752
	;; [unrolled: 1-line block ×3, first 2 shown]
.LBB0_19:
	s_or_b64 exec, exec, s[2:3]
	v_and_b32_e32 v42, 3, v36
	v_lshlrev_b32_e32 v41, 5, v42
	global_load_dwordx4 v[43:46], v41, s[8:9]
	global_load_dwordx4 v[47:50], v41, s[8:9] offset:16
	v_lshrrev_b32_e32 v51, 2, v36
	v_lshrrev_b32_e32 v52, 2, v37
	v_mul_u32_u24_e32 v51, 12, v51
	v_mul_u32_u24_e32 v52, 12, v52
	v_or_b32_e32 v51, v51, v42
	v_or_b32_e32 v71, v52, v42
	v_lshl_add_u32 v72, v51, 4, 0
	s_mov_b32 s4, 0xe8584caa
	s_mov_b32 s5, 0xbfebb67a
	;; [unrolled: 1-line block ×4, first 2 shown]
	v_add_u32_e32 v41, 0x120, v36
	s_waitcnt vmcnt(0) lgkmcnt(0)
	s_barrier
	v_mul_f64 v[51:52], v[30:31], v[45:46]
	v_mul_f64 v[53:54], v[28:29], v[45:46]
	;; [unrolled: 1-line block ×12, first 2 shown]
	v_fma_f64 v[28:29], v[28:29], v[43:44], v[51:52]
	v_fma_f64 v[30:31], v[30:31], v[43:44], -v[53:54]
	v_fma_f64 v[51:52], v[24:25], v[43:44], v[55:56]
	v_fma_f64 v[26:27], v[26:27], v[43:44], -v[57:58]
	;; [unrolled: 2-line block ×3, first 2 shown]
	v_fma_f64 v[22:23], v[2:3], v[43:44], -v[45:46]
	v_fma_f64 v[2:3], v[20:21], v[47:48], v[61:62]
	v_fma_f64 v[43:44], v[16:17], v[47:48], v[65:66]
	v_fma_f64 v[45:46], v[18:19], v[47:48], -v[67:68]
	v_fma_f64 v[16:17], v[32:33], v[47:48], v[69:70]
	v_fma_f64 v[18:19], v[34:35], v[47:48], -v[49:50]
	v_add_f64 v[32:33], v[14:15], v[30:31]
	v_add_f64 v[47:48], v[30:31], v[0:1]
	;; [unrolled: 1-line block ×7, first 2 shown]
	v_add_f64 v[67:68], v[51:52], -v[43:44]
	v_add_f64 v[51:52], v[24:25], v[16:17]
	v_add_f64 v[69:70], v[22:23], v[18:19]
	v_add_f64 v[34:35], v[30:31], -v[0:1]
	v_add_f64 v[55:56], v[28:29], -v[2:3]
	v_add_f64 v[63:64], v[10:11], v[26:27]
	v_add_f64 v[65:66], v[26:27], -v[45:46]
	v_add_f64 v[20:21], v[22:23], -v[18:19]
	;; [unrolled: 1-line block ×3, first 2 shown]
	v_add_f64 v[30:31], v[32:33], v[0:1]
	v_add_f64 v[28:29], v[49:50], v[2:3]
	v_fma_f64 v[0:1], v[53:54], -0.5, v[12:13]
	v_fma_f64 v[2:3], v[47:48], -0.5, v[14:15]
	;; [unrolled: 1-line block ×6, first 2 shown]
	v_add_f64 v[12:13], v[61:62], v[43:44]
	v_add_f64 v[14:15], v[63:64], v[45:46]
	v_fma_f64 v[32:33], v[34:35], s[4:5], v[0:1]
	v_fma_f64 v[43:44], v[34:35], s[2:3], v[0:1]
	;; [unrolled: 1-line block ×10, first 2 shown]
	v_lshl_add_u32 v55, v71, 4, 0
	ds_write_b128 v72, v[28:31]
	ds_write_b128 v72, v[32:35] offset:64
	ds_write_b128 v72, v[43:46] offset:128
	ds_write_b128 v55, v[12:15]
	ds_write_b128 v55, v[47:50] offset:64
	ds_write_b128 v55, v[51:54] offset:128
	s_and_saveexec_b64 s[4:5], vcc
	s_cbranch_execz .LBB0_21
; %bb.20:
	v_mul_f64 v[12:13], v[26:27], s[2:3]
	v_add_f64 v[14:15], v[6:7], v[22:23]
	v_add_f64 v[4:5], v[4:5], v[24:25]
	v_mul_f64 v[20:21], v[20:21], s[2:3]
	v_add_f64 v[6:7], v[12:13], v[10:11]
	v_add_f64 v[12:13], v[14:15], v[18:19]
	;; [unrolled: 1-line block ×3, first 2 shown]
	v_add_f64 v[4:5], v[8:9], -v[20:21]
	v_lshrrev_b32_e32 v8, 2, v41
	v_mul_u32_u24_e32 v8, 12, v8
	v_or_b32_e32 v8, v8, v42
	v_lshl_add_u32 v8, v8, 4, 0
	ds_write_b128 v8, v[10:13]
	ds_write_b128 v8, v[4:7] offset:64
	ds_write_b128 v8, v[0:3] offset:128
.LBB0_21:
	s_or_b64 exec, exec, s[4:5]
	s_movk_i32 s2, 0xab
	v_mul_lo_u16_sdwa v4, v36, s2 dst_sel:DWORD dst_unused:UNUSED_PAD src0_sel:BYTE_0 src1_sel:DWORD
	v_lshrrev_b16_e32 v70, 11, v4
	v_mul_lo_u16_e32 v4, 12, v70
	v_sub_u16_e32 v71, v36, v4
	v_mov_b32_e32 v4, 7
	v_mul_u32_u24_sdwa v4, v71, v4 dst_sel:DWORD dst_unused:UNUSED_PAD src0_sel:BYTE_0 src1_sel:DWORD
	v_lshlrev_b32_e32 v32, 4, v4
	s_waitcnt lgkmcnt(0)
	s_barrier
	global_load_dwordx4 v[4:7], v32, s[8:9] offset:128
	global_load_dwordx4 v[8:11], v32, s[8:9] offset:144
	global_load_dwordx4 v[12:15], v32, s[8:9] offset:160
	global_load_dwordx4 v[16:19], v32, s[8:9] offset:176
	global_load_dwordx4 v[20:23], v32, s[8:9] offset:208
	global_load_dwordx4 v[24:27], v32, s[8:9] offset:192
	global_load_dwordx4 v[28:31], v32, s[8:9] offset:224
	v_mul_u32_u24_e32 v70, 0x60, v70
	v_or_b32_sdwa v70, v70, v71 dst_sel:DWORD dst_unused:UNUSED_PAD src0_sel:DWORD src1_sel:BYTE_0
	ds_read_b128 v[32:35], v40 offset:4608
	ds_read_b128 v[42:45], v40 offset:6912
	;; [unrolled: 1-line block ×3, first 2 shown]
	ds_read_b128 v[50:53], v40
	ds_read_b128 v[54:57], v40 offset:9216
	ds_read_b128 v[58:61], v40 offset:11520
	;; [unrolled: 1-line block ×4, first 2 shown]
	v_lshl_add_u32 v78, v70, 4, 0
	s_mov_b32 s2, 0x667f3bcd
	s_mov_b32 s3, 0xbfe6a09e
	s_mov_b32 s5, 0x3fe6a09e
	s_mov_b32 s4, s2
	s_waitcnt vmcnt(0) lgkmcnt(0)
	s_barrier
	v_mul_f64 v[70:71], v[48:49], v[6:7]
	v_mul_f64 v[6:7], v[46:47], v[6:7]
	;; [unrolled: 1-line block ×8, first 2 shown]
	v_fma_f64 v[46:47], v[46:47], v[4:5], v[70:71]
	v_fma_f64 v[4:5], v[48:49], v[4:5], -v[6:7]
	v_mul_f64 v[6:7], v[64:65], v[22:23]
	v_mul_f64 v[22:23], v[62:63], v[22:23]
	v_mul_f64 v[48:49], v[60:61], v[26:27]
	v_mul_f64 v[26:27], v[58:59], v[26:27]
	v_fma_f64 v[32:33], v[32:33], v[8:9], v[72:73]
	v_fma_f64 v[8:9], v[34:35], v[8:9], -v[10:11]
	v_mul_f64 v[10:11], v[68:69], v[30:31]
	v_mul_f64 v[30:31], v[66:67], v[30:31]
	v_fma_f64 v[34:35], v[42:43], v[12:13], v[74:75]
	v_fma_f64 v[12:13], v[44:45], v[12:13], -v[14:15]
	v_fma_f64 v[14:15], v[54:55], v[16:17], v[76:77]
	v_fma_f64 v[16:17], v[56:57], v[16:17], -v[18:19]
	;; [unrolled: 2-line block ×5, first 2 shown]
	v_add_f64 v[14:15], v[50:51], -v[14:15]
	v_add_f64 v[16:17], v[52:53], -v[16:17]
	;; [unrolled: 1-line block ×8, first 2 shown]
	v_fma_f64 v[26:27], v[50:51], 2.0, -v[14:15]
	v_fma_f64 v[28:29], v[52:53], 2.0, -v[16:17]
	;; [unrolled: 1-line block ×6, first 2 shown]
	v_add_f64 v[44:45], v[16:17], -v[6:7]
	v_fma_f64 v[6:7], v[34:35], 2.0, -v[10:11]
	v_fma_f64 v[12:13], v[12:13], 2.0, -v[24:25]
	v_add_f64 v[42:43], v[14:15], v[18:19]
	v_add_f64 v[18:19], v[20:21], v[24:25]
	v_add_f64 v[10:11], v[22:23], -v[10:11]
	v_add_f64 v[24:25], v[26:27], -v[30:31]
	;; [unrolled: 1-line block ×3, first 2 shown]
	v_fma_f64 v[46:47], v[16:17], 2.0, -v[44:45]
	v_add_f64 v[6:7], v[32:33], -v[6:7]
	v_add_f64 v[8:9], v[4:5], -v[12:13]
	v_fma_f64 v[34:35], v[14:15], 2.0, -v[42:43]
	v_fma_f64 v[20:21], v[20:21], 2.0, -v[18:19]
	;; [unrolled: 1-line block ×3, first 2 shown]
	v_fma_f64 v[12:13], v[18:19], s[4:5], v[42:43]
	v_fma_f64 v[14:15], v[10:11], s[4:5], v[44:45]
	v_fma_f64 v[48:49], v[26:27], 2.0, -v[24:25]
	v_fma_f64 v[50:51], v[28:29], 2.0, -v[30:31]
	;; [unrolled: 1-line block ×4, first 2 shown]
	v_fma_f64 v[28:29], v[20:21], s[2:3], v[34:35]
	v_fma_f64 v[32:33], v[16:17], s[2:3], v[46:47]
	v_add_f64 v[4:5], v[24:25], v[8:9]
	v_add_f64 v[6:7], v[30:31], -v[6:7]
	v_fma_f64 v[8:9], v[10:11], s[4:5], v[12:13]
	v_fma_f64 v[10:11], v[18:19], s[2:3], v[14:15]
	v_add_f64 v[12:13], v[48:49], -v[22:23]
	v_add_f64 v[14:15], v[50:51], -v[26:27]
	v_fma_f64 v[16:17], v[16:17], s[4:5], v[28:29]
	v_fma_f64 v[18:19], v[20:21], s[2:3], v[32:33]
	v_fma_f64 v[20:21], v[24:25], 2.0, -v[4:5]
	v_fma_f64 v[22:23], v[30:31], 2.0, -v[6:7]
	;; [unrolled: 1-line block ×8, first 2 shown]
	ds_write_b128 v78, v[4:7] offset:1152
	ds_write_b128 v78, v[8:11] offset:1344
	;; [unrolled: 1-line block ×6, first 2 shown]
	ds_write_b128 v78, v[28:31]
	ds_write_b128 v78, v[32:35] offset:192
	s_waitcnt lgkmcnt(0)
	s_barrier
	ds_read_b128 v[12:15], v40
	ds_read_b128 v[16:19], v40 offset:2304
	ds_read_b128 v[20:23], v40 offset:6144
	;; [unrolled: 1-line block ×5, first 2 shown]
	s_and_saveexec_b64 s[2:3], vcc
	s_cbranch_execz .LBB0_23
; %bb.22:
	ds_read_b128 v[4:7], v40 offset:4608
	ds_read_b128 v[8:11], v40 offset:10752
	;; [unrolled: 1-line block ×3, first 2 shown]
.LBB0_23:
	s_or_b64 exec, exec, s[2:3]
	v_add_u32_e32 v42, 0xffffffa0, v36
	s_mov_b32 s10, 0xaaab
	v_cndmask_b32_e32 v60, v42, v36, vcc
	v_mul_u32_u24_sdwa v42, v37, s10 dst_sel:DWORD dst_unused:UNUSED_PAD src0_sel:WORD_0 src1_sel:DWORD
	v_lshrrev_b32_e32 v61, 22, v42
	v_mul_lo_u16_e32 v42, 0x60, v61
	v_sub_u16_e32 v37, v37, v42
	v_lshlrev_b32_e32 v42, 1, v60
	v_mov_b32_e32 v43, 0
	v_lshlrev_b64 v[50:51], 4, v[42:43]
	v_mov_b32_e32 v53, s9
	v_add_co_u32_e64 v58, s[2:3], s8, v50
	v_lshlrev_b32_e32 v52, 5, v37
	v_addc_co_u32_e64 v59, s[2:3], v53, v51, s[2:3]
	global_load_dwordx4 v[42:45], v52, s[8:9] offset:1472
	global_load_dwordx4 v[46:49], v52, s[8:9] offset:1488
	s_nop 0
	global_load_dwordx4 v[50:53], v[58:59], off offset:1472
	global_load_dwordx4 v[54:57], v[58:59], off offset:1488
	s_movk_i32 s2, 0x5f
	v_mov_b32_e32 v58, 0x1200
	v_cmp_lt_u32_e64 s[2:3], s2, v36
	v_cndmask_b32_e64 v58, 0, v58, s[2:3]
	v_lshlrev_b32_e32 v59, 4, v60
	v_add3_u32 v66, 0, v58, v59
	v_mul_u32_u24_e32 v58, 0x1200, v61
	v_lshlrev_b32_e32 v37, 4, v37
	v_add3_u32 v37, 0, v58, v37
	s_mov_b32 s4, 0xe8584caa
	s_mov_b32 s5, 0xbfebb67a
	;; [unrolled: 1-line block ×4, first 2 shown]
	s_waitcnt vmcnt(0) lgkmcnt(0)
	s_barrier
	v_mul_f64 v[58:59], v[30:31], v[44:45]
	v_mul_f64 v[60:61], v[34:35], v[48:49]
	;; [unrolled: 1-line block ×8, first 2 shown]
	v_fma_f64 v[28:29], v[28:29], v[42:43], v[58:59]
	v_fma_f64 v[32:33], v[32:33], v[46:47], v[60:61]
	;; [unrolled: 1-line block ×4, first 2 shown]
	v_fma_f64 v[22:23], v[22:23], v[50:51], -v[52:53]
	v_fma_f64 v[26:27], v[26:27], v[54:55], -v[56:57]
	v_fma_f64 v[30:31], v[30:31], v[42:43], -v[44:45]
	v_fma_f64 v[34:35], v[34:35], v[46:47], -v[48:49]
	v_add_f64 v[42:43], v[16:17], v[28:29]
	v_add_f64 v[44:45], v[28:29], v[32:33]
	v_add_f64 v[52:53], v[28:29], -v[32:33]
	v_add_f64 v[50:51], v[20:21], v[24:25]
	v_add_f64 v[54:55], v[12:13], v[20:21]
	;; [unrolled: 1-line block ×4, first 2 shown]
	v_add_f64 v[46:47], v[30:31], -v[34:35]
	v_add_f64 v[30:31], v[30:31], v[34:35]
	v_add_f64 v[56:57], v[22:23], -v[26:27]
	v_add_f64 v[22:23], v[14:15], v[22:23]
	v_add_f64 v[58:59], v[20:21], -v[24:25]
	v_fma_f64 v[50:51], v[50:51], -0.5, v[12:13]
	v_add_f64 v[12:13], v[42:43], v[32:33]
	v_fma_f64 v[32:33], v[28:29], -0.5, v[14:15]
	v_fma_f64 v[44:45], v[44:45], -0.5, v[16:17]
	;; [unrolled: 1-line block ×3, first 2 shown]
	v_add_f64 v[16:17], v[54:55], v[24:25]
	v_add_f64 v[18:19], v[22:23], v[26:27]
	;; [unrolled: 1-line block ×3, first 2 shown]
	v_fma_f64 v[24:25], v[56:57], s[4:5], v[50:51]
	v_fma_f64 v[28:29], v[56:57], s[6:7], v[50:51]
	;; [unrolled: 1-line block ×8, first 2 shown]
	ds_write_b128 v66, v[16:19]
	ds_write_b128 v66, v[24:27] offset:1536
	ds_write_b128 v66, v[28:31] offset:3072
	ds_write_b128 v37, v[12:15]
	ds_write_b128 v37, v[20:23] offset:1536
	ds_write_b128 v37, v[32:35] offset:3072
	s_and_saveexec_b64 s[2:3], vcc
	s_cbranch_execz .LBB0_25
; %bb.24:
	v_mul_u32_u24_sdwa v12, v41, s10 dst_sel:DWORD dst_unused:UNUSED_PAD src0_sel:WORD_0 src1_sel:DWORD
	v_lshrrev_b32_e32 v12, 22, v12
	v_mul_lo_u16_e32 v12, 0x60, v12
	v_sub_u16_e32 v24, v41, v12
	v_lshlrev_b32_e32 v20, 5, v24
	global_load_dwordx4 v[12:15], v20, s[8:9] offset:1472
	global_load_dwordx4 v[16:19], v20, s[8:9] offset:1488
	s_waitcnt vmcnt(1)
	v_mul_f64 v[20:21], v[8:9], v[14:15]
	s_waitcnt vmcnt(0)
	v_mul_f64 v[22:23], v[0:1], v[18:19]
	v_mul_f64 v[14:15], v[10:11], v[14:15]
	v_mul_f64 v[18:19], v[2:3], v[18:19]
	v_fma_f64 v[10:11], v[10:11], v[12:13], -v[20:21]
	v_fma_f64 v[2:3], v[2:3], v[16:17], -v[22:23]
	v_fma_f64 v[8:9], v[8:9], v[12:13], v[14:15]
	v_fma_f64 v[0:1], v[0:1], v[16:17], v[18:19]
	v_add_f64 v[18:19], v[6:7], v[10:11]
	v_add_f64 v[12:13], v[10:11], v[2:3]
	v_add_f64 v[20:21], v[10:11], -v[2:3]
	v_add_f64 v[14:15], v[8:9], v[0:1]
	v_add_f64 v[16:17], v[8:9], -v[0:1]
	v_add_f64 v[8:9], v[4:5], v[8:9]
	v_add_f64 v[2:3], v[18:19], v[2:3]
	v_fma_f64 v[12:13], v[12:13], -0.5, v[6:7]
	v_fma_f64 v[4:5], v[14:15], -0.5, v[4:5]
	v_add_f64 v[0:1], v[8:9], v[0:1]
	v_fma_f64 v[10:11], v[16:17], s[6:7], v[12:13]
	v_fma_f64 v[6:7], v[16:17], s[4:5], v[12:13]
	v_fma_f64 v[8:9], v[20:21], s[4:5], v[4:5]
	v_fma_f64 v[4:5], v[20:21], s[6:7], v[4:5]
	v_lshl_add_u32 v12, v24, 4, 0
	ds_write_b128 v12, v[0:3] offset:13824
	ds_write_b128 v12, v[8:11] offset:15360
	;; [unrolled: 1-line block ×3, first 2 shown]
.LBB0_25:
	s_or_b64 exec, exec, s[2:3]
	v_mul_u32_u24_e32 v0, 3, v36
	v_lshlrev_b32_e32 v0, 4, v0
	v_mov_b32_e32 v1, s9
	v_add_co_u32_e32 v16, vcc, s8, v0
	v_addc_co_u32_e32 v17, vcc, 0, v1, vcc
	s_movk_i32 s2, 0x11c0
	v_add_co_u32_e32 v12, vcc, s2, v16
	v_addc_co_u32_e32 v13, vcc, 0, v17, vcc
	s_movk_i32 s2, 0x1000
	v_add_co_u32_e32 v14, vcc, s2, v16
	v_addc_co_u32_e32 v15, vcc, 0, v17, vcc
	s_waitcnt lgkmcnt(0)
	s_barrier
	global_load_dwordx4 v[0:3], v[14:15], off offset:448
	global_load_dwordx4 v[4:7], v[12:13], off offset:32
	;; [unrolled: 1-line block ×3, first 2 shown]
	s_movk_i32 s3, 0x2000
	v_add_co_u32_e32 v12, vcc, s3, v16
	s_movk_i32 s2, 0x2cc0
	v_addc_co_u32_e32 v13, vcc, 0, v17, vcc
	v_add_co_u32_e32 v24, vcc, s2, v16
	v_addc_co_u32_e32 v25, vcc, 0, v17, vcc
	global_load_dwordx4 v[12:15], v[12:13], off offset:3264
	s_nop 0
	global_load_dwordx4 v[16:19], v[24:25], off offset:16
	global_load_dwordx4 v[20:23], v[24:25], off offset:32
	ds_read_b128 v[24:27], v40
	ds_read_b128 v[28:31], v40 offset:2304
	ds_read_b128 v[32:35], v40 offset:4608
	;; [unrolled: 1-line block ×7, first 2 shown]
	s_waitcnt vmcnt(0) lgkmcnt(0)
	s_barrier
	v_mul_f64 v[61:62], v[34:35], v[2:3]
	v_mul_f64 v[2:3], v[32:33], v[2:3]
	;; [unrolled: 1-line block ×6, first 2 shown]
	v_fma_f64 v[32:33], v[32:33], v[0:1], v[61:62]
	v_fma_f64 v[0:1], v[34:35], v[0:1], -v[2:3]
	v_fma_f64 v[34:35], v[45:46], v[8:9], v[63:64]
	v_fma_f64 v[8:9], v[47:48], v[8:9], -v[10:11]
	v_fma_f64 v[10:11], v[53:54], v[4:5], v[65:66]
	v_mul_f64 v[67:68], v[43:44], v[14:15]
	v_mul_f64 v[14:15], v[41:42], v[14:15]
	;; [unrolled: 1-line block ×6, first 2 shown]
	v_fma_f64 v[4:5], v[55:56], v[4:5], -v[6:7]
	v_fma_f64 v[6:7], v[41:42], v[12:13], v[67:68]
	v_fma_f64 v[12:13], v[43:44], v[12:13], -v[14:15]
	v_fma_f64 v[14:15], v[49:50], v[16:17], v[69:70]
	;; [unrolled: 2-line block ×3, first 2 shown]
	v_fma_f64 v[18:19], v[59:60], v[20:21], -v[22:23]
	v_add_f64 v[20:21], v[24:25], -v[34:35]
	v_add_f64 v[22:23], v[26:27], -v[8:9]
	;; [unrolled: 1-line block ×8, first 2 shown]
	v_fma_f64 v[24:25], v[24:25], 2.0, -v[20:21]
	v_fma_f64 v[26:27], v[26:27], 2.0, -v[22:23]
	;; [unrolled: 1-line block ×8, first 2 shown]
	v_add_f64 v[0:1], v[20:21], v[4:5]
	v_add_f64 v[2:3], v[22:23], -v[8:9]
	v_add_f64 v[4:5], v[34:35], v[14:15]
	v_add_f64 v[6:7], v[41:42], -v[10:11]
	v_add_f64 v[8:9], v[24:25], -v[16:17]
	;; [unrolled: 1-line block ×5, first 2 shown]
	v_fma_f64 v[16:17], v[20:21], 2.0, -v[0:1]
	v_fma_f64 v[18:19], v[22:23], 2.0, -v[2:3]
	;; [unrolled: 1-line block ×8, first 2 shown]
	ds_write_b128 v40, v[0:3] offset:13824
	ds_write_b128 v40, v[4:7] offset:16128
	;; [unrolled: 1-line block ×6, first 2 shown]
	ds_write_b128 v40, v[24:27]
	ds_write_b128 v40, v[28:31] offset:2304
	s_waitcnt lgkmcnt(0)
	s_barrier
	s_and_saveexec_b64 s[2:3], s[0:1]
	s_cbranch_execz .LBB0_27
; %bb.26:
	v_lshl_add_u32 v10, v36, 4, 0
	v_mov_b32_e32 v37, 0
	ds_read_b128 v[0:3], v10
	v_mov_b32_e32 v4, s13
	v_add_co_u32_e32 v11, vcc, s12, v38
	v_addc_co_u32_e32 v12, vcc, v4, v39, vcc
	v_lshlrev_b64 v[4:5], 4, v[36:37]
	v_add_co_u32_e32 v8, vcc, v11, v4
	v_addc_co_u32_e32 v9, vcc, v12, v5, vcc
	ds_read_b128 v[4:7], v10 offset:2304
	s_waitcnt lgkmcnt(1)
	global_store_dwordx4 v[8:9], v[0:3], off
	s_nop 0
	v_add_u32_e32 v0, 0x90, v36
	v_mov_b32_e32 v1, v37
	v_lshlrev_b64 v[0:1], 4, v[0:1]
	v_add_co_u32_e32 v0, vcc, v11, v0
	v_addc_co_u32_e32 v1, vcc, v12, v1, vcc
	s_waitcnt lgkmcnt(0)
	global_store_dwordx4 v[0:1], v[4:7], off
	ds_read_b128 v[0:3], v10 offset:4608
	v_add_u32_e32 v4, 0x120, v36
	v_mov_b32_e32 v5, v37
	v_lshlrev_b64 v[4:5], 4, v[4:5]
	v_add_co_u32_e32 v8, vcc, v11, v4
	v_addc_co_u32_e32 v9, vcc, v12, v5, vcc
	ds_read_b128 v[4:7], v10 offset:6912
	s_waitcnt lgkmcnt(1)
	global_store_dwordx4 v[8:9], v[0:3], off
	s_nop 0
	v_add_u32_e32 v0, 0x1b0, v36
	v_mov_b32_e32 v1, v37
	v_lshlrev_b64 v[0:1], 4, v[0:1]
	v_add_co_u32_e32 v0, vcc, v11, v0
	v_addc_co_u32_e32 v1, vcc, v12, v1, vcc
	s_waitcnt lgkmcnt(0)
	global_store_dwordx4 v[0:1], v[4:7], off
	ds_read_b128 v[0:3], v10 offset:9216
	v_add_u32_e32 v4, 0x240, v36
	v_mov_b32_e32 v5, v37
	;; [unrolled: 17-line block ×3, first 2 shown]
	v_lshlrev_b64 v[4:5], 4, v[4:5]
	v_add_u32_e32 v36, 0x3f0, v36
	v_add_co_u32_e32 v8, vcc, v11, v4
	v_addc_co_u32_e32 v9, vcc, v12, v5, vcc
	ds_read_b128 v[4:7], v10 offset:16128
	s_waitcnt lgkmcnt(1)
	global_store_dwordx4 v[8:9], v[0:3], off
	s_nop 0
	v_lshlrev_b64 v[0:1], 4, v[36:37]
	v_add_co_u32_e32 v0, vcc, v11, v0
	v_addc_co_u32_e32 v1, vcc, v12, v1, vcc
	s_waitcnt lgkmcnt(0)
	global_store_dwordx4 v[0:1], v[4:7], off
.LBB0_27:
	s_endpgm
	.section	.rodata,"a",@progbits
	.p2align	6, 0x0
	.amdhsa_kernel fft_rtc_back_len1152_factors_4_3_8_3_4_wgs_144_tpt_144_halfLds_dp_ip_CI_unitstride_sbrr_C2R_dirReg
		.amdhsa_group_segment_fixed_size 0
		.amdhsa_private_segment_fixed_size 0
		.amdhsa_kernarg_size 88
		.amdhsa_user_sgpr_count 6
		.amdhsa_user_sgpr_private_segment_buffer 1
		.amdhsa_user_sgpr_dispatch_ptr 0
		.amdhsa_user_sgpr_queue_ptr 0
		.amdhsa_user_sgpr_kernarg_segment_ptr 1
		.amdhsa_user_sgpr_dispatch_id 0
		.amdhsa_user_sgpr_flat_scratch_init 0
		.amdhsa_user_sgpr_private_segment_size 0
		.amdhsa_uses_dynamic_stack 0
		.amdhsa_system_sgpr_private_segment_wavefront_offset 0
		.amdhsa_system_sgpr_workgroup_id_x 1
		.amdhsa_system_sgpr_workgroup_id_y 0
		.amdhsa_system_sgpr_workgroup_id_z 0
		.amdhsa_system_sgpr_workgroup_info 0
		.amdhsa_system_vgpr_workitem_id 0
		.amdhsa_next_free_vgpr 79
		.amdhsa_next_free_sgpr 22
		.amdhsa_reserve_vcc 1
		.amdhsa_reserve_flat_scratch 0
		.amdhsa_float_round_mode_32 0
		.amdhsa_float_round_mode_16_64 0
		.amdhsa_float_denorm_mode_32 3
		.amdhsa_float_denorm_mode_16_64 3
		.amdhsa_dx10_clamp 1
		.amdhsa_ieee_mode 1
		.amdhsa_fp16_overflow 0
		.amdhsa_exception_fp_ieee_invalid_op 0
		.amdhsa_exception_fp_denorm_src 0
		.amdhsa_exception_fp_ieee_div_zero 0
		.amdhsa_exception_fp_ieee_overflow 0
		.amdhsa_exception_fp_ieee_underflow 0
		.amdhsa_exception_fp_ieee_inexact 0
		.amdhsa_exception_int_div_zero 0
	.end_amdhsa_kernel
	.text
.Lfunc_end0:
	.size	fft_rtc_back_len1152_factors_4_3_8_3_4_wgs_144_tpt_144_halfLds_dp_ip_CI_unitstride_sbrr_C2R_dirReg, .Lfunc_end0-fft_rtc_back_len1152_factors_4_3_8_3_4_wgs_144_tpt_144_halfLds_dp_ip_CI_unitstride_sbrr_C2R_dirReg
                                        ; -- End function
	.section	.AMDGPU.csdata,"",@progbits
; Kernel info:
; codeLenInByte = 6556
; NumSgprs: 26
; NumVgprs: 79
; ScratchSize: 0
; MemoryBound: 0
; FloatMode: 240
; IeeeMode: 1
; LDSByteSize: 0 bytes/workgroup (compile time only)
; SGPRBlocks: 3
; VGPRBlocks: 19
; NumSGPRsForWavesPerEU: 26
; NumVGPRsForWavesPerEU: 79
; Occupancy: 3
; WaveLimiterHint : 1
; COMPUTE_PGM_RSRC2:SCRATCH_EN: 0
; COMPUTE_PGM_RSRC2:USER_SGPR: 6
; COMPUTE_PGM_RSRC2:TRAP_HANDLER: 0
; COMPUTE_PGM_RSRC2:TGID_X_EN: 1
; COMPUTE_PGM_RSRC2:TGID_Y_EN: 0
; COMPUTE_PGM_RSRC2:TGID_Z_EN: 0
; COMPUTE_PGM_RSRC2:TIDIG_COMP_CNT: 0
	.type	__hip_cuid_d7543e7e90e2a100,@object ; @__hip_cuid_d7543e7e90e2a100
	.section	.bss,"aw",@nobits
	.globl	__hip_cuid_d7543e7e90e2a100
__hip_cuid_d7543e7e90e2a100:
	.byte	0                               ; 0x0
	.size	__hip_cuid_d7543e7e90e2a100, 1

	.ident	"AMD clang version 19.0.0git (https://github.com/RadeonOpenCompute/llvm-project roc-6.4.0 25133 c7fe45cf4b819c5991fe208aaa96edf142730f1d)"
	.section	".note.GNU-stack","",@progbits
	.addrsig
	.addrsig_sym __hip_cuid_d7543e7e90e2a100
	.amdgpu_metadata
---
amdhsa.kernels:
  - .args:
      - .actual_access:  read_only
        .address_space:  global
        .offset:         0
        .size:           8
        .value_kind:     global_buffer
      - .offset:         8
        .size:           8
        .value_kind:     by_value
      - .actual_access:  read_only
        .address_space:  global
        .offset:         16
        .size:           8
        .value_kind:     global_buffer
      - .actual_access:  read_only
        .address_space:  global
        .offset:         24
        .size:           8
        .value_kind:     global_buffer
      - .offset:         32
        .size:           8
        .value_kind:     by_value
      - .actual_access:  read_only
        .address_space:  global
        .offset:         40
        .size:           8
        .value_kind:     global_buffer
      - .actual_access:  read_only
        .address_space:  global
        .offset:         48
        .size:           8
        .value_kind:     global_buffer
      - .offset:         56
        .size:           4
        .value_kind:     by_value
      - .actual_access:  read_only
        .address_space:  global
        .offset:         64
        .size:           8
        .value_kind:     global_buffer
      - .actual_access:  read_only
        .address_space:  global
        .offset:         72
        .size:           8
        .value_kind:     global_buffer
      - .address_space:  global
        .offset:         80
        .size:           8
        .value_kind:     global_buffer
    .group_segment_fixed_size: 0
    .kernarg_segment_align: 8
    .kernarg_segment_size: 88
    .language:       OpenCL C
    .language_version:
      - 2
      - 0
    .max_flat_workgroup_size: 144
    .name:           fft_rtc_back_len1152_factors_4_3_8_3_4_wgs_144_tpt_144_halfLds_dp_ip_CI_unitstride_sbrr_C2R_dirReg
    .private_segment_fixed_size: 0
    .sgpr_count:     26
    .sgpr_spill_count: 0
    .symbol:         fft_rtc_back_len1152_factors_4_3_8_3_4_wgs_144_tpt_144_halfLds_dp_ip_CI_unitstride_sbrr_C2R_dirReg.kd
    .uniform_work_group_size: 1
    .uses_dynamic_stack: false
    .vgpr_count:     79
    .vgpr_spill_count: 0
    .wavefront_size: 64
amdhsa.target:   amdgcn-amd-amdhsa--gfx906
amdhsa.version:
  - 1
  - 2
...

	.end_amdgpu_metadata
